;; amdgpu-corpus repo=ROCm/rocFFT kind=compiled arch=gfx1201 opt=O3
	.text
	.amdgcn_target "amdgcn-amd-amdhsa--gfx1201"
	.amdhsa_code_object_version 6
	.protected	fft_rtc_back_len343_factors_7_7_7_wgs_245_tpt_49_sp_ip_CI_sbcc_twdbase5_3step_dirReg_intrinsicReadWrite ; -- Begin function fft_rtc_back_len343_factors_7_7_7_wgs_245_tpt_49_sp_ip_CI_sbcc_twdbase5_3step_dirReg_intrinsicReadWrite
	.globl	fft_rtc_back_len343_factors_7_7_7_wgs_245_tpt_49_sp_ip_CI_sbcc_twdbase5_3step_dirReg_intrinsicReadWrite
	.p2align	8
	.type	fft_rtc_back_len343_factors_7_7_7_wgs_245_tpt_49_sp_ip_CI_sbcc_twdbase5_3step_dirReg_intrinsicReadWrite,@function
fft_rtc_back_len343_factors_7_7_7_wgs_245_tpt_49_sp_ip_CI_sbcc_twdbase5_3step_dirReg_intrinsicReadWrite: ; @fft_rtc_back_len343_factors_7_7_7_wgs_245_tpt_49_sp_ip_CI_sbcc_twdbase5_3step_dirReg_intrinsicReadWrite
; %bb.0:
	s_load_b256 s[4:11], s[0:1], 0x8
	s_mov_b32 s16, ttmp9
	s_mov_b32 s2, exec_lo
	v_cmpx_gt_u32_e32 0x60, v0
	s_cbranch_execz .LBB0_2
; %bb.1:
	v_lshlrev_b32_e32 v3, 3, v0
	s_wait_kmcnt 0x0
	global_load_b64 v[1:2], v3, s[4:5]
	v_add_nc_u32_e32 v3, 0, v3
	s_wait_loadcnt 0x0
	ds_store_b64 v3, v[1:2] offset:13720
.LBB0_2:
	s_or_b32 exec_lo, exec_lo, s2
	s_mov_b32 s17, 0
	s_mov_b32 s2, 0x3330c000
	s_movk_i32 s3, 0xb3
	s_wait_kmcnt 0x0
	s_mov_b32 s4, s17
	s_mov_b32 s5, s17
	s_mov_b32 s19, s17
	s_add_nc_u64 s[2:3], s[4:5], s[2:3]
	s_load_b64 s[4:5], s[8:9], 0x8
	s_add_co_i32 s3, s3, 0x33333280
	s_mov_b64 s[24:25], 0
	s_mul_u64 s[12:13], s[2:3], -5
	s_delay_alu instid0(SALU_CYCLE_1)
	s_mul_hi_u32 s15, s2, s13
	s_mul_i32 s14, s2, s13
	s_mul_hi_u32 s18, s2, s12
	s_mul_hi_u32 s20, s3, s12
	s_mul_i32 s12, s3, s12
	s_add_nc_u64 s[14:15], s[18:19], s[14:15]
	s_mul_hi_u32 s18, s3, s13
	s_add_co_u32 s12, s14, s12
	s_add_co_ci_u32 s12, s15, s20
	s_add_co_ci_u32 s15, s18, 0
	s_mul_i32 s14, s3, s13
	s_mov_b32 s13, s17
	s_delay_alu instid0(SALU_CYCLE_1) | instskip(NEXT) | instid1(SALU_CYCLE_1)
	s_add_nc_u64 s[12:13], s[12:13], s[14:15]
	v_add_co_u32 v1, s2, s2, s12
	s_delay_alu instid0(VALU_DEP_1)
	s_cmp_lg_u32 s2, 0
	s_wait_kmcnt 0x0
	s_add_nc_u64 s[14:15], s[4:5], -1
	s_add_co_ci_u32 s19, s3, s13
	v_readfirstlane_b32 s18, v1
	s_mul_hi_u32 s3, s14, s19
	s_mul_i32 s2, s14, s19
	s_mov_b32 s13, s17
	s_delay_alu instid0(VALU_DEP_1)
	s_mul_hi_u32 s12, s14, s18
	s_wait_alu 0xfffe
	s_add_nc_u64 s[2:3], s[12:13], s[2:3]
	s_mul_i32 s13, s15, s18
	s_mul_hi_u32 s18, s15, s18
	s_mul_hi_u32 s12, s15, s19
	s_wait_alu 0xfffe
	s_add_co_u32 s2, s2, s13
	s_add_co_ci_u32 s2, s3, s18
	s_add_co_ci_u32 s13, s12, 0
	s_mul_i32 s12, s15, s19
	s_mov_b32 s3, s17
	s_wait_alu 0xfffe
	s_add_nc_u64 s[2:3], s[2:3], s[12:13]
	s_wait_alu 0xfffe
	s_mul_u64 s[12:13], s[2:3], 5
	s_wait_alu 0xfffe
	v_sub_co_u32 v1, s12, s14, s12
	s_delay_alu instid0(VALU_DEP_1) | instskip(SKIP_1) | instid1(VALU_DEP_1)
	s_cmp_lg_u32 s12, 0
	s_sub_co_ci_u32 s18, s15, s13
	v_sub_co_u32 v2, s14, v1, 5
	s_delay_alu instid0(VALU_DEP_1) | instskip(SKIP_2) | instid1(VALU_DEP_2)
	s_cmp_lg_u32 s14, 0
	v_readfirstlane_b32 s20, v1
	s_sub_co_ci_u32 s14, s18, 0
	v_readfirstlane_b32 s12, v2
	s_delay_alu instid0(VALU_DEP_1)
	s_cmp_gt_u32 s12, 4
	s_add_nc_u64 s[12:13], s[2:3], 1
	s_cselect_b32 s19, -1, 0
	s_wait_alu 0xfffe
	s_cmp_eq_u32 s14, 0
	s_add_nc_u64 s[14:15], s[2:3], 2
	s_cselect_b32 s19, s19, -1
	s_delay_alu instid0(SALU_CYCLE_1)
	s_cmp_lg_u32 s19, 0
	s_wait_alu 0xfffe
	s_cselect_b32 s12, s14, s12
	s_cselect_b32 s13, s15, s13
	s_cmp_gt_u32 s20, 4
	s_cselect_b32 s14, -1, 0
	s_cmp_eq_u32 s18, 0
	s_wait_alu 0xfffe
	s_cselect_b32 s14, s14, -1
	s_wait_alu 0xfffe
	s_cmp_lg_u32 s14, 0
	s_cselect_b32 s3, s13, s3
	s_cselect_b32 s2, s12, s2
	s_wait_alu 0xfffe
	s_add_nc_u64 s[18:19], s[2:3], 1
	s_delay_alu instid0(SALU_CYCLE_1) | instskip(NEXT) | instid1(VALU_DEP_1)
	v_cmp_lt_u64_e64 s2, s[16:17], s[18:19]
	s_and_b32 vcc_lo, exec_lo, s2
	s_cbranch_vccnz .LBB0_4
; %bb.3:
	v_cvt_f32_u32_e32 v1, s18
	s_sub_co_i32 s3, 0, s18
	s_mov_b32 s25, s17
	s_delay_alu instid0(VALU_DEP_1) | instskip(NEXT) | instid1(TRANS32_DEP_1)
	v_rcp_iflag_f32_e32 v1, v1
	v_mul_f32_e32 v1, 0x4f7ffffe, v1
	s_delay_alu instid0(VALU_DEP_1) | instskip(NEXT) | instid1(VALU_DEP_1)
	v_cvt_u32_f32_e32 v1, v1
	v_readfirstlane_b32 s2, v1
	s_wait_alu 0xfffe
	s_delay_alu instid0(VALU_DEP_1)
	s_mul_i32 s3, s3, s2
	s_wait_alu 0xfffe
	s_mul_hi_u32 s3, s2, s3
	s_wait_alu 0xfffe
	s_add_co_i32 s2, s2, s3
	s_wait_alu 0xfffe
	s_mul_hi_u32 s2, s16, s2
	s_wait_alu 0xfffe
	s_mul_i32 s3, s2, s18
	s_add_co_i32 s12, s2, 1
	s_wait_alu 0xfffe
	s_sub_co_i32 s3, s16, s3
	s_wait_alu 0xfffe
	s_sub_co_i32 s13, s3, s18
	s_cmp_ge_u32 s3, s18
	s_cselect_b32 s2, s12, s2
	s_wait_alu 0xfffe
	s_cselect_b32 s3, s13, s3
	s_add_co_i32 s12, s2, 1
	s_wait_alu 0xfffe
	s_cmp_ge_u32 s3, s18
	s_cselect_b32 s24, s12, s2
.LBB0_4:
	s_load_b128 s[12:15], s[10:11], 0x0
	s_clause 0x1
	s_load_b64 s[2:3], s[0:1], 0x58
	s_load_b64 s[0:1], s[0:1], 0x0
	s_wait_kmcnt 0x0
	v_cmp_lt_u64_e64 s13, s[6:7], 3
	s_mul_u64 s[20:21], s[24:25], s[18:19]
	s_delay_alu instid0(SALU_CYCLE_1) | instskip(NEXT) | instid1(SALU_CYCLE_1)
	s_sub_nc_u64 s[20:21], s[16:17], s[20:21]
	s_mul_u64 s[22:23], s[20:21], 5
	s_delay_alu instid0(VALU_DEP_1)
	s_and_b32 vcc_lo, exec_lo, s13
	s_mul_u64 s[20:21], s[14:15], s[22:23]
	s_cbranch_vccnz .LBB0_14
; %bb.5:
	s_add_nc_u64 s[26:27], s[10:11], 16
	s_add_nc_u64 s[8:9], s[8:9], 16
	s_mov_b64 s[28:29], 2
	s_mov_b32 s30, 0
.LBB0_6:                                ; =>This Inner Loop Header: Depth=1
	s_load_b64 s[34:35], s[8:9], 0x0
                                        ; implicit-def: $sgpr38_sgpr39
	s_wait_kmcnt 0x0
	s_or_b64 s[36:37], s[24:25], s[34:35]
	s_delay_alu instid0(SALU_CYCLE_1)
	s_mov_b32 s31, s37
	s_mov_b32 s37, -1
	s_cmp_lg_u64 s[30:31], 0
	s_cbranch_scc0 .LBB0_8
; %bb.7:                                ;   in Loop: Header=BB0_6 Depth=1
	s_cvt_f32_u32 s13, s34
	s_cvt_f32_u32 s31, s35
	s_sub_nc_u64 s[40:41], 0, s[34:35]
	s_mov_b32 s37, 0
	s_mov_b32 s45, s30
	s_wait_alu 0xfffe
	s_fmamk_f32 s13, s31, 0x4f800000, s13
	s_wait_alu 0xfffe
	s_delay_alu instid0(SALU_CYCLE_2) | instskip(NEXT) | instid1(TRANS32_DEP_1)
	v_s_rcp_f32 s13, s13
	s_mul_f32 s13, s13, 0x5f7ffffc
	s_wait_alu 0xfffe
	s_delay_alu instid0(SALU_CYCLE_2) | instskip(NEXT) | instid1(SALU_CYCLE_3)
	s_mul_f32 s31, s13, 0x2f800000
	s_trunc_f32 s31, s31
	s_delay_alu instid0(SALU_CYCLE_3) | instskip(SKIP_2) | instid1(SALU_CYCLE_1)
	s_fmamk_f32 s13, s31, 0xcf800000, s13
	s_cvt_u32_f32 s39, s31
	s_wait_alu 0xfffe
	s_cvt_u32_f32 s38, s13
	s_wait_alu 0xfffe
	s_delay_alu instid0(SALU_CYCLE_2)
	s_mul_u64 s[42:43], s[40:41], s[38:39]
	s_wait_alu 0xfffe
	s_mul_hi_u32 s47, s38, s43
	s_mul_i32 s46, s38, s43
	s_mul_hi_u32 s36, s38, s42
	s_mul_i32 s31, s39, s42
	s_add_nc_u64 s[46:47], s[36:37], s[46:47]
	s_mul_hi_u32 s13, s39, s42
	s_mul_hi_u32 s33, s39, s43
	s_add_co_u32 s31, s46, s31
	s_wait_alu 0xfffe
	s_add_co_ci_u32 s44, s47, s13
	s_mul_i32 s42, s39, s43
	s_add_co_ci_u32 s43, s33, 0
	s_wait_alu 0xfffe
	s_add_nc_u64 s[42:43], s[44:45], s[42:43]
	s_wait_alu 0xfffe
	v_add_co_u32 v1, s13, s38, s42
	s_delay_alu instid0(VALU_DEP_1) | instskip(SKIP_1) | instid1(VALU_DEP_1)
	s_cmp_lg_u32 s13, 0
	s_add_co_ci_u32 s39, s39, s43
	v_readfirstlane_b32 s38, v1
	s_mov_b32 s43, s30
	s_wait_alu 0xfffe
	s_delay_alu instid0(VALU_DEP_1)
	s_mul_u64 s[40:41], s[40:41], s[38:39]
	s_wait_alu 0xfffe
	s_mul_hi_u32 s45, s38, s41
	s_mul_i32 s44, s38, s41
	s_mul_hi_u32 s36, s38, s40
	s_mul_i32 s31, s39, s40
	s_add_nc_u64 s[44:45], s[36:37], s[44:45]
	s_mul_hi_u32 s13, s39, s40
	s_mul_hi_u32 s33, s39, s41
	s_add_co_u32 s31, s44, s31
	s_wait_alu 0xfffe
	s_add_co_ci_u32 s42, s45, s13
	s_mul_i32 s40, s39, s41
	s_add_co_ci_u32 s41, s33, 0
	s_wait_alu 0xfffe
	s_add_nc_u64 s[40:41], s[42:43], s[40:41]
	s_wait_alu 0xfffe
	v_add_co_u32 v1, s13, v1, s40
	s_delay_alu instid0(VALU_DEP_1) | instskip(SKIP_1) | instid1(VALU_DEP_1)
	s_cmp_lg_u32 s13, 0
	s_add_co_ci_u32 s13, s39, s41
	v_readfirstlane_b32 s31, v1
	s_wait_alu 0xfffe
	s_mul_hi_u32 s39, s24, s13
	s_mul_i32 s38, s24, s13
	s_mul_hi_u32 s33, s25, s13
	s_mul_i32 s40, s25, s13
	;; [unrolled: 2-line block ×3, first 2 shown]
	s_wait_alu 0xfffe
	s_add_nc_u64 s[38:39], s[36:37], s[38:39]
	s_mul_hi_u32 s31, s25, s31
	s_wait_alu 0xfffe
	s_add_co_u32 s13, s38, s13
	s_add_co_ci_u32 s42, s39, s31
	s_add_co_ci_u32 s41, s33, 0
	s_wait_alu 0xfffe
	s_add_nc_u64 s[38:39], s[42:43], s[40:41]
	s_wait_alu 0xfffe
	s_mul_u64 s[40:41], s[34:35], s[38:39]
	s_add_nc_u64 s[42:43], s[38:39], 1
	s_wait_alu 0xfffe
	v_sub_co_u32 v1, s13, s24, s40
	s_sub_co_i32 s31, s25, s41
	s_cmp_lg_u32 s13, 0
	s_add_nc_u64 s[44:45], s[38:39], 2
	s_delay_alu instid0(VALU_DEP_1) | instskip(SKIP_2) | instid1(VALU_DEP_1)
	v_sub_co_u32 v2, s33, v1, s34
	s_sub_co_ci_u32 s31, s31, s35
	s_cmp_lg_u32 s33, 0
	v_readfirstlane_b32 s33, v2
	s_sub_co_ci_u32 s31, s31, 0
	s_delay_alu instid0(SALU_CYCLE_1) | instskip(SKIP_1) | instid1(VALU_DEP_1)
	s_cmp_ge_u32 s31, s35
	s_cselect_b32 s36, -1, 0
	s_cmp_ge_u32 s33, s34
	s_cselect_b32 s33, -1, 0
	s_cmp_eq_u32 s31, s35
	s_cselect_b32 s31, s33, s36
	s_delay_alu instid0(SALU_CYCLE_1)
	s_cmp_lg_u32 s31, 0
	s_cselect_b32 s31, s44, s42
	s_cselect_b32 s33, s45, s43
	s_cmp_lg_u32 s13, 0
	v_readfirstlane_b32 s13, v1
	s_sub_co_ci_u32 s36, s25, s41
	s_delay_alu instid0(SALU_CYCLE_1) | instskip(SKIP_1) | instid1(VALU_DEP_1)
	s_cmp_ge_u32 s36, s35
	s_cselect_b32 s40, -1, 0
	s_cmp_ge_u32 s13, s34
	s_cselect_b32 s13, -1, 0
	s_cmp_eq_u32 s36, s35
	s_wait_alu 0xfffe
	s_cselect_b32 s13, s13, s40
	s_wait_alu 0xfffe
	s_cmp_lg_u32 s13, 0
	s_cselect_b32 s39, s33, s39
	s_cselect_b32 s38, s31, s38
.LBB0_8:                                ;   in Loop: Header=BB0_6 Depth=1
	s_and_not1_b32 vcc_lo, exec_lo, s37
	s_cbranch_vccnz .LBB0_10
; %bb.9:                                ;   in Loop: Header=BB0_6 Depth=1
	v_cvt_f32_u32_e32 v1, s34
	s_sub_co_i32 s31, 0, s34
	s_mov_b32 s39, s30
	s_delay_alu instid0(VALU_DEP_1) | instskip(NEXT) | instid1(TRANS32_DEP_1)
	v_rcp_iflag_f32_e32 v1, v1
	v_mul_f32_e32 v1, 0x4f7ffffe, v1
	s_delay_alu instid0(VALU_DEP_1) | instskip(NEXT) | instid1(VALU_DEP_1)
	v_cvt_u32_f32_e32 v1, v1
	v_readfirstlane_b32 s13, v1
	s_delay_alu instid0(VALU_DEP_1) | instskip(NEXT) | instid1(SALU_CYCLE_1)
	s_mul_i32 s31, s31, s13
	s_mul_hi_u32 s31, s13, s31
	s_delay_alu instid0(SALU_CYCLE_1)
	s_add_co_i32 s13, s13, s31
	s_wait_alu 0xfffe
	s_mul_hi_u32 s13, s24, s13
	s_wait_alu 0xfffe
	s_mul_i32 s31, s13, s34
	s_add_co_i32 s33, s13, 1
	s_sub_co_i32 s31, s24, s31
	s_delay_alu instid0(SALU_CYCLE_1)
	s_sub_co_i32 s36, s31, s34
	s_cmp_ge_u32 s31, s34
	s_cselect_b32 s13, s33, s13
	s_cselect_b32 s31, s36, s31
	s_wait_alu 0xfffe
	s_add_co_i32 s33, s13, 1
	s_cmp_ge_u32 s31, s34
	s_cselect_b32 s38, s33, s13
.LBB0_10:                               ;   in Loop: Header=BB0_6 Depth=1
	s_load_b64 s[36:37], s[26:27], 0x0
	s_add_nc_u64 s[28:29], s[28:29], 1
	s_mul_u64 s[18:19], s[34:35], s[18:19]
	s_wait_alu 0xfffe
	v_cmp_ge_u64_e64 s13, s[28:29], s[6:7]
	s_mul_u64 s[34:35], s[38:39], s[34:35]
	s_add_nc_u64 s[26:27], s[26:27], 8
	s_wait_alu 0xfffe
	s_sub_nc_u64 s[24:25], s[24:25], s[34:35]
	s_add_nc_u64 s[8:9], s[8:9], 8
	s_and_b32 vcc_lo, exec_lo, s13
	s_wait_kmcnt 0x0
	s_wait_alu 0xfffe
	s_mul_u64 s[24:25], s[36:37], s[24:25]
	s_wait_alu 0xfffe
	s_add_nc_u64 s[20:21], s[24:25], s[20:21]
	s_cbranch_vccnz .LBB0_12
; %bb.11:                               ;   in Loop: Header=BB0_6 Depth=1
	s_mov_b64 s[24:25], s[38:39]
	s_branch .LBB0_6
.LBB0_12:
	v_cmp_lt_u64_e64 s8, s[16:17], s[18:19]
	s_mov_b64 s[24:25], 0
	s_delay_alu instid0(VALU_DEP_1)
	s_and_b32 vcc_lo, exec_lo, s8
	s_cbranch_vccnz .LBB0_14
; %bb.13:
	v_cvt_f32_u32_e32 v1, s18
	s_sub_co_i32 s9, 0, s18
	s_mov_b32 s25, 0
	s_delay_alu instid0(VALU_DEP_1) | instskip(NEXT) | instid1(TRANS32_DEP_1)
	v_rcp_iflag_f32_e32 v1, v1
	v_mul_f32_e32 v1, 0x4f7ffffe, v1
	s_delay_alu instid0(VALU_DEP_1) | instskip(NEXT) | instid1(VALU_DEP_1)
	v_cvt_u32_f32_e32 v1, v1
	v_readfirstlane_b32 s8, v1
	s_delay_alu instid0(VALU_DEP_1) | instskip(NEXT) | instid1(SALU_CYCLE_1)
	s_mul_i32 s9, s9, s8
	s_mul_hi_u32 s9, s8, s9
	s_delay_alu instid0(SALU_CYCLE_1) | instskip(NEXT) | instid1(SALU_CYCLE_1)
	s_add_co_i32 s8, s8, s9
	s_mul_hi_u32 s8, s16, s8
	s_delay_alu instid0(SALU_CYCLE_1) | instskip(SKIP_2) | instid1(SALU_CYCLE_1)
	s_mul_i32 s9, s8, s18
	s_add_co_i32 s13, s8, 1
	s_sub_co_i32 s9, s16, s9
	s_sub_co_i32 s16, s9, s18
	s_cmp_ge_u32 s9, s18
	s_wait_alu 0xfffe
	s_cselect_b32 s8, s13, s8
	s_cselect_b32 s9, s16, s9
	s_add_co_i32 s13, s8, 1
	s_cmp_ge_u32 s9, s18
	s_wait_alu 0xfffe
	s_cselect_b32 s24, s13, s8
.LBB0_14:
	v_mul_hi_u32 v15, 0x33333334, v0
	s_lshl_b64 s[6:7], s[6:7], 3
	s_add_nc_u64 s[8:9], s[22:23], 5
	s_wait_alu 0xfffe
	s_add_nc_u64 s[6:7], s[10:11], s[6:7]
	v_cmp_le_u64_e64 s8, s[8:9], s[4:5]
	s_load_b64 s[6:7], s[6:7], 0x0
	v_mov_b32_e32 v4, 0
	v_mul_u32_u24_e32 v1, 5, v15
	s_delay_alu instid0(VALU_DEP_1) | instskip(NEXT) | instid1(VALU_DEP_1)
	v_sub_nc_u32_e32 v16, v0, v1
	v_mad_co_u64_u32 v[26:27], null, s14, v16, 0
	v_add_co_u32 v24, s10, s22, v16
	s_delay_alu instid0(VALU_DEP_1) | instskip(SKIP_2) | instid1(VALU_DEP_3)
	v_add_co_ci_u32_e64 v25, null, s23, 0, s10
	s_wait_kmcnt 0x0
	s_mul_u64 s[6:7], s[6:7], s[24:25]
	v_mov_b32_e32 v1, v27
	s_delay_alu instid0(VALU_DEP_2) | instskip(SKIP_2) | instid1(VALU_DEP_2)
	v_cmp_gt_u64_e32 vcc_lo, s[4:5], v[24:25]
	s_wait_alu 0xfffe
	s_add_nc_u64 s[4:5], s[6:7], s[20:21]
	v_mad_co_u64_u32 v[1:2], null, s15, v16, v[1:2]
	v_dual_mov_b32 v2, 0 :: v_dual_mov_b32 v1, 0
	s_or_b32 s5, s8, vcc_lo
	s_wait_alu 0xfffe
	s_and_saveexec_b32 s6, s5
	s_cbranch_execz .LBB0_16
; %bb.15:
	v_mul_lo_u32 v1, s12, v15
	s_delay_alu instid0(VALU_DEP_1) | instskip(NEXT) | instid1(VALU_DEP_1)
	v_add3_u32 v3, s4, v26, v1
	v_lshlrev_b64_e32 v[1:2], 3, v[3:4]
	s_delay_alu instid0(VALU_DEP_1) | instskip(NEXT) | instid1(VALU_DEP_2)
	v_add_co_u32 v1, vcc_lo, s2, v1
	v_add_co_ci_u32_e32 v2, vcc_lo, s3, v2, vcc_lo
	global_load_b64 v[1:2], v[1:2], off
.LBB0_16:
	s_wait_alu 0xfffe
	s_or_b32 exec_lo, exec_lo, s6
	v_mov_b32_e32 v3, 0
	s_and_saveexec_b32 s6, s5
	s_cbranch_execz .LBB0_18
; %bb.17:
	v_dual_mov_b32 v4, 0 :: v_dual_add_nc_u32 v3, 49, v15
	s_delay_alu instid0(VALU_DEP_1) | instskip(NEXT) | instid1(VALU_DEP_1)
	v_mul_lo_u32 v3, s12, v3
	v_add3_u32 v3, s4, v26, v3
	s_delay_alu instid0(VALU_DEP_1) | instskip(NEXT) | instid1(VALU_DEP_1)
	v_lshlrev_b64_e32 v[3:4], 3, v[3:4]
	v_add_co_u32 v3, vcc_lo, s2, v3
	s_wait_alu 0xfffd
	s_delay_alu instid0(VALU_DEP_2)
	v_add_co_ci_u32_e32 v4, vcc_lo, s3, v4, vcc_lo
	global_load_b64 v[3:4], v[3:4], off
.LBB0_18:
	s_wait_alu 0xfffe
	s_or_b32 exec_lo, exec_lo, s6
	v_dual_mov_b32 v6, 0 :: v_dual_mov_b32 v7, 0
	v_mov_b32_e32 v8, 0
	s_and_saveexec_b32 s6, s5
	s_cbranch_execz .LBB0_20
; %bb.19:
	v_dual_mov_b32 v8, 0 :: v_dual_add_nc_u32 v5, 0x62, v15
	s_delay_alu instid0(VALU_DEP_1) | instskip(NEXT) | instid1(VALU_DEP_1)
	v_mul_lo_u32 v5, s12, v5
	v_add3_u32 v7, s4, v26, v5
	s_delay_alu instid0(VALU_DEP_1) | instskip(NEXT) | instid1(VALU_DEP_1)
	v_lshlrev_b64_e32 v[7:8], 3, v[7:8]
	v_add_co_u32 v7, vcc_lo, s2, v7
	s_wait_alu 0xfffd
	s_delay_alu instid0(VALU_DEP_2)
	v_add_co_ci_u32_e32 v8, vcc_lo, s3, v8, vcc_lo
	global_load_b64 v[7:8], v[7:8], off
.LBB0_20:
	s_wait_alu 0xfffe
	s_or_b32 exec_lo, exec_lo, s6
	v_mov_b32_e32 v5, 0
	s_and_saveexec_b32 s6, s5
	s_cbranch_execz .LBB0_22
; %bb.21:
	v_dual_mov_b32 v6, 0 :: v_dual_add_nc_u32 v5, 0x93, v15
	s_delay_alu instid0(VALU_DEP_1) | instskip(NEXT) | instid1(VALU_DEP_1)
	v_mul_lo_u32 v5, s12, v5
	v_add3_u32 v5, s4, v26, v5
	s_delay_alu instid0(VALU_DEP_1) | instskip(NEXT) | instid1(VALU_DEP_1)
	v_lshlrev_b64_e32 v[5:6], 3, v[5:6]
	v_add_co_u32 v5, vcc_lo, s2, v5
	s_wait_alu 0xfffd
	s_delay_alu instid0(VALU_DEP_2)
	v_add_co_ci_u32_e32 v6, vcc_lo, s3, v6, vcc_lo
	global_load_b64 v[5:6], v[5:6], off
.LBB0_22:
	s_wait_alu 0xfffe
	s_or_b32 exec_lo, exec_lo, s6
	v_dual_mov_b32 v12, 0 :: v_dual_mov_b32 v9, 0
	v_mov_b32_e32 v10, 0
	s_and_saveexec_b32 s6, s5
	s_cbranch_execz .LBB0_24
; %bb.23:
	v_dual_mov_b32 v10, 0 :: v_dual_add_nc_u32 v9, 0xc4, v15
	s_delay_alu instid0(VALU_DEP_1) | instskip(NEXT) | instid1(VALU_DEP_1)
	v_mul_lo_u32 v9, s12, v9
	v_add3_u32 v9, s4, v26, v9
	s_delay_alu instid0(VALU_DEP_1) | instskip(NEXT) | instid1(VALU_DEP_1)
	v_lshlrev_b64_e32 v[9:10], 3, v[9:10]
	v_add_co_u32 v9, vcc_lo, s2, v9
	s_wait_alu 0xfffd
	s_delay_alu instid0(VALU_DEP_2)
	v_add_co_ci_u32_e32 v10, vcc_lo, s3, v10, vcc_lo
	global_load_b64 v[9:10], v[9:10], off
.LBB0_24:
	s_wait_alu 0xfffe
	s_or_b32 exec_lo, exec_lo, s6
	v_mov_b32_e32 v11, 0
	s_and_saveexec_b32 s6, s5
	s_cbranch_execz .LBB0_26
; %bb.25:
	v_dual_mov_b32 v12, 0 :: v_dual_add_nc_u32 v11, 0xf5, v15
	s_delay_alu instid0(VALU_DEP_1) | instskip(NEXT) | instid1(VALU_DEP_1)
	v_mul_lo_u32 v11, s12, v11
	v_add3_u32 v11, s4, v26, v11
	s_delay_alu instid0(VALU_DEP_1) | instskip(NEXT) | instid1(VALU_DEP_1)
	v_lshlrev_b64_e32 v[11:12], 3, v[11:12]
	v_add_co_u32 v11, vcc_lo, s2, v11
	s_wait_alu 0xfffd
	s_delay_alu instid0(VALU_DEP_2)
	v_add_co_ci_u32_e32 v12, vcc_lo, s3, v12, vcc_lo
	global_load_b64 v[11:12], v[11:12], off
.LBB0_26:
	s_wait_alu 0xfffe
	s_or_b32 exec_lo, exec_lo, s6
	v_dual_mov_b32 v14, 0 :: v_dual_mov_b32 v13, 0
	s_and_saveexec_b32 s6, s5
	s_cbranch_execz .LBB0_28
; %bb.27:
	v_dual_mov_b32 v14, 0 :: v_dual_add_nc_u32 v13, 0x126, v15
	s_delay_alu instid0(VALU_DEP_1) | instskip(NEXT) | instid1(VALU_DEP_1)
	v_mul_lo_u32 v13, s12, v13
	v_add3_u32 v13, s4, v26, v13
	s_delay_alu instid0(VALU_DEP_1) | instskip(NEXT) | instid1(VALU_DEP_1)
	v_lshlrev_b64_e32 v[13:14], 3, v[13:14]
	v_add_co_u32 v13, vcc_lo, s2, v13
	s_wait_alu 0xfffd
	s_delay_alu instid0(VALU_DEP_2)
	v_add_co_ci_u32_e32 v14, vcc_lo, s3, v14, vcc_lo
	global_load_b64 v[13:14], v[13:14], off
.LBB0_28:
	s_wait_alu 0xfffe
	s_or_b32 exec_lo, exec_lo, s6
	s_wait_loadcnt 0x0
	v_dual_add_f32 v17, v3, v13 :: v_dual_add_f32 v18, v4, v14
	v_dual_sub_f32 v3, v3, v13 :: v_dual_sub_f32 v4, v4, v14
	v_dual_add_f32 v13, v7, v11 :: v_dual_add_f32 v14, v8, v12
	v_dual_sub_f32 v7, v7, v11 :: v_dual_sub_f32 v8, v8, v12
	;; [unrolled: 2-line block ×3, first 2 shown]
	s_delay_alu instid0(VALU_DEP_4) | instskip(SKIP_1) | instid1(VALU_DEP_3)
	v_dual_add_f32 v9, v13, v17 :: v_dual_add_f32 v10, v14, v18
	v_dual_sub_f32 v19, v13, v17 :: v_dual_sub_f32 v20, v14, v18
	v_sub_f32_e32 v25, v6, v8
	v_dual_sub_f32 v17, v17, v11 :: v_dual_sub_f32 v18, v18, v12
	s_delay_alu instid0(VALU_DEP_4) | instskip(SKIP_3) | instid1(VALU_DEP_4)
	v_dual_add_f32 v10, v12, v10 :: v_dual_add_f32 v9, v11, v9
	v_dual_sub_f32 v13, v11, v13 :: v_dual_sub_f32 v14, v12, v14
	v_dual_add_f32 v21, v5, v7 :: v_dual_add_f32 v22, v6, v8
	v_dual_sub_f32 v23, v5, v7 :: v_dual_sub_f32 v6, v4, v6
	;; [unrolled: 2-line block ×3, first 2 shown]
	s_delay_alu instid0(VALU_DEP_4)
	v_dual_sub_f32 v7, v7, v3 :: v_dual_add_f32 v4, v22, v4
	v_dual_add_f32 v3, v21, v3 :: v_dual_mul_f32 v12, 0x3f4a47b2, v18
	v_mul_f32_e32 v18, 0x3d64c772, v14
	v_dual_mul_f32 v11, 0x3f4a47b2, v17 :: v_dual_mov_b32 v22, v1
	v_mul_f32_e32 v17, 0x3d64c772, v13
	v_mul_f32_e32 v21, 0x3f08b237, v23
	v_dual_mov_b32 v23, v2 :: v_dual_mul_f32 v28, 0xbf5ff5aa, v8
	s_delay_alu instid0(VALU_DEP_4) | instskip(NEXT) | instid1(VALU_DEP_2)
	v_dual_fmac_f32 v22, 0xbf955555, v9 :: v_dual_lshlrev_b32 v33, 3, v16
	v_fmac_f32_e32 v23, 0xbf955555, v10
	v_fmamk_f32 v10, v14, 0x3d64c772, v12
	v_mul_f32_e32 v25, 0x3f08b237, v25
	v_fma_f32 v14, 0x3f3bfb3b, v20, -v18
	v_fmamk_f32 v9, v13, 0x3d64c772, v11
	v_fma_f32 v13, 0x3f3bfb3b, v19, -v17
	v_fma_f32 v12, 0xbf3bfb3b, v20, -v12
	v_fmamk_f32 v17, v5, 0xbeae86e6, v21
	v_fma_f32 v11, 0xbf3bfb3b, v19, -v11
	v_fmamk_f32 v18, v6, 0xbeae86e6, v25
	v_fma_f32 v20, 0xbf5ff5aa, v8, -v25
	v_fma_f32 v25, 0x3eae86e6, v6, -v28
	v_add_f32_e32 v28, v10, v23
	v_add_f32_e32 v12, v12, v23
	v_mul_f32_e32 v27, 0xbf5ff5aa, v7
	v_dual_fmac_f32 v17, 0xbee1c552, v3 :: v_dual_fmac_f32 v20, 0xbee1c552, v4
	v_dual_add_f32 v10, v14, v23 :: v_dual_add_f32 v11, v11, v22
	v_fmac_f32_e32 v18, 0xbee1c552, v4
	s_delay_alu instid0(VALU_DEP_3) | instskip(SKIP_4) | instid1(VALU_DEP_3)
	v_dual_fmac_f32 v25, 0xbee1c552, v4 :: v_dual_sub_f32 v4, v28, v17
	v_fma_f32 v19, 0xbf5ff5aa, v7, -v21
	v_fma_f32 v21, 0x3eae86e6, v5, -v27
	v_mul_u32_u24_e32 v14, 0x118, v15
	v_add_f32_e32 v27, v9, v22
	v_fmac_f32_e32 v21, 0xbee1c552, v3
	s_delay_alu instid0(VALU_DEP_3) | instskip(SKIP_1) | instid1(VALU_DEP_3)
	v_add3_u32 v16, 0, v14, v33
	v_dual_add_f32 v14, v17, v28 :: v_dual_fmac_f32 v19, 0xbee1c552, v3
	v_sub_f32_e32 v6, v12, v21
	v_add_f32_e32 v12, v21, v12
	v_add_f32_e32 v9, v13, v22
	v_mul_hi_u32 v13, 0x24924925, v15
	v_add_f32_e32 v8, v19, v10
	v_sub_f32_e32 v10, v10, v19
	v_add_f32_e32 v5, v25, v11
	v_sub_f32_e32 v11, v11, v25
	v_mad_i32_i24 v25, 0xffffff10, v15, v16
	v_add_f32_e32 v3, v18, v27
	v_sub_f32_e32 v7, v9, v20
	v_mul_u32_u24_e32 v13, 7, v13
	v_add_f32_e32 v9, v20, v9
	s_delay_alu instid0(VALU_DEP_2)
	v_sub_nc_u32_e32 v29, v15, v13
	v_sub_f32_e32 v13, v27, v18
	ds_store_2addr_b64 v16, v[1:2], v[3:4] offset1:5
	ds_store_2addr_b64 v16, v[5:6], v[7:8] offset0:10 offset1:15
	ds_store_2addr_b64 v16, v[9:10], v[11:12] offset0:20 offset1:25
	ds_store_b64 v16, v[13:14] offset:240
	global_wb scope:SCOPE_SE
	s_wait_dscnt 0x0
	v_mul_u32_u24_e32 v17, 6, v29
	s_barrier_signal -1
	s_barrier_wait -1
	global_inv scope:SCOPE_SE
	v_mul_hi_u32 v27, 0x7507508, v0
	v_lshlrev_b32_e32 v1, 3, v17
	s_clause 0x2
	global_load_b128 v[3:6], v1, s[0:1]
	global_load_b128 v[7:10], v1, s[0:1] offset:16
	global_load_b128 v[11:14], v1, s[0:1] offset:32
	v_add_nc_u32_e32 v1, 0xf00, v25
	v_add_nc_u32_e32 v2, 0x1e80, v25
	ds_load_2addr_b64 v[16:19], v25 offset1:245
	v_mad_u32_u24 v34, v27, 49, v29
	ds_load_2addr_b64 v[20:23], v1 offset0:10 offset1:255
	ds_load_2addr_b64 v[27:30], v2 offset0:4 offset1:249
	ds_load_b64 v[31:32], v25 offset:11760
	global_wb scope:SCOPE_SE
	s_wait_loadcnt_dscnt 0x0
	v_mul_i32_i24_e32 v34, 40, v34
	s_barrier_signal -1
	s_barrier_wait -1
	global_inv scope:SCOPE_SE
	v_mul_f32_e32 v36, v8, v23
	v_add3_u32 v33, 0, v34, v33
	v_mul_f32_e32 v34, v4, v19
	v_dual_mul_f32 v4, v4, v18 :: v_dual_mul_f32 v35, v6, v21
	v_mul_f32_e32 v6, v6, v20
	v_mul_f32_e32 v8, v8, v22
	s_delay_alu instid0(VALU_DEP_4)
	v_dual_fmac_f32 v34, v3, v18 :: v_dual_mul_f32 v37, v10, v28
	v_mul_f32_e32 v10, v10, v27
	v_mul_f32_e32 v38, v12, v30
	v_dual_mul_f32 v12, v12, v29 :: v_dual_mul_f32 v39, v14, v32
	v_fmac_f32_e32 v36, v7, v22
	v_mul_f32_e32 v14, v14, v31
	v_fma_f32 v3, v3, v19, -v4
	v_dual_fmac_f32 v35, v5, v20 :: v_dual_fmac_f32 v38, v11, v29
	v_fma_f32 v4, v5, v21, -v6
	v_fma_f32 v5, v7, v23, -v8
	v_fmac_f32_e32 v39, v13, v31
	v_fma_f32 v6, v13, v32, -v14
	v_fmac_f32_e32 v37, v9, v27
	v_fma_f32 v7, v9, v28, -v10
	v_fma_f32 v8, v11, v30, -v12
	v_sub_f32_e32 v13, v35, v38
	v_add_f32_e32 v10, v3, v6
	v_sub_f32_e32 v3, v3, v6
	v_dual_add_f32 v6, v35, v38 :: v_dual_add_f32 v9, v34, v39
	v_dual_add_f32 v12, v4, v8 :: v_dual_sub_f32 v11, v34, v39
	v_sub_f32_e32 v4, v4, v8
	v_add_f32_e32 v8, v36, v37
	v_add_f32_e32 v14, v5, v7
	v_dual_sub_f32 v18, v37, v36 :: v_dual_sub_f32 v5, v7, v5
	v_add_f32_e32 v7, v6, v9
	v_dual_add_f32 v19, v12, v10 :: v_dual_sub_f32 v20, v6, v9
	s_delay_alu instid0(VALU_DEP_4) | instskip(SKIP_4) | instid1(VALU_DEP_4)
	v_dual_sub_f32 v21, v12, v10 :: v_dual_sub_f32 v12, v14, v12
	v_dual_sub_f32 v9, v9, v8 :: v_dual_sub_f32 v10, v10, v14
	v_dual_add_f32 v22, v18, v13 :: v_dual_add_f32 v23, v5, v4
	v_dual_sub_f32 v6, v8, v6 :: v_dual_sub_f32 v27, v18, v13
	v_dual_sub_f32 v28, v5, v4 :: v_dual_sub_f32 v5, v3, v5
	v_dual_sub_f32 v29, v4, v3 :: v_dual_mul_f32 v10, 0x3f4a47b2, v10
	v_add_f32_e32 v7, v8, v7
	v_add_f32_e32 v8, v14, v19
	v_dual_add_f32 v14, v23, v3 :: v_dual_mul_f32 v9, 0x3f4a47b2, v9
	v_dual_sub_f32 v18, v11, v18 :: v_dual_sub_f32 v13, v13, v11
	v_add_f32_e32 v11, v22, v11
	s_delay_alu instid0(VALU_DEP_4)
	v_dual_mul_f32 v19, 0x3d64c772, v6 :: v_dual_add_f32 v4, v8, v17
	v_mul_f32_e32 v22, 0x3d64c772, v12
	v_dual_mul_f32 v30, 0xbf5ff5aa, v29 :: v_dual_add_f32 v3, v7, v16
	v_fmamk_f32 v12, v12, 0x3d64c772, v10
	v_fmamk_f32 v6, v6, 0x3d64c772, v9
	v_fma_f32 v9, 0xbf3bfb3b, v20, -v9
	v_mul_f32_e32 v23, 0x3f08b237, v27
	v_fma_f32 v10, 0xbf3bfb3b, v21, -v10
	v_mul_f32_e32 v27, 0x3f08b237, v28
	v_mul_f32_e32 v28, 0xbf5ff5aa, v13
	v_fma_f32 v16, 0x3f3bfb3b, v20, -v19
	v_fma_f32 v17, 0x3f3bfb3b, v21, -v22
	;; [unrolled: 1-line block ×3, first 2 shown]
	v_fmamk_f32 v20, v5, 0xbeae86e6, v27
	v_fma_f32 v21, 0xbf5ff5aa, v29, -v27
	v_fmamk_f32 v5, v7, 0xbf955555, v3
	v_fmamk_f32 v7, v8, 0xbf955555, v4
	s_delay_alu instid0(VALU_DEP_4) | instskip(NEXT) | instid1(VALU_DEP_4)
	v_fmac_f32_e32 v20, 0xbee1c552, v14
	v_fmac_f32_e32 v21, 0xbee1c552, v14
	;; [unrolled: 1-line block ×3, first 2 shown]
	v_dual_add_f32 v14, v9, v5 :: v_dual_fmamk_f32 v19, v18, 0xbeae86e6, v23
	v_fma_f32 v13, 0xbf5ff5aa, v13, -v23
	v_fma_f32 v18, 0x3eae86e6, v18, -v28
	v_add_f32_e32 v27, v12, v7
	v_add_f32_e32 v12, v17, v7
	s_delay_alu instid0(VALU_DEP_4) | instskip(SKIP_3) | instid1(VALU_DEP_4)
	v_fmac_f32_e32 v13, 0xbee1c552, v11
	v_fmac_f32_e32 v19, 0xbee1c552, v11
	v_dual_fmac_f32 v18, 0xbee1c552, v11 :: v_dual_add_f32 v11, v16, v5
	v_add_f32_e32 v16, v10, v7
	v_add_f32_e32 v10, v13, v12
	s_delay_alu instid0(VALU_DEP_4) | instskip(NEXT) | instid1(VALU_DEP_3)
	v_dual_sub_f32 v12, v12, v13 :: v_dual_add_f32 v17, v19, v27
	v_dual_sub_f32 v9, v11, v21 :: v_dual_sub_f32 v8, v16, v18
	v_dual_add_f32 v23, v6, v5 :: v_dual_sub_f32 v6, v27, v19
	v_add_f32_e32 v11, v21, v11
	s_delay_alu instid0(VALU_DEP_2)
	v_add_f32_e32 v5, v20, v23
	v_add_f32_e32 v7, v22, v14
	v_sub_f32_e32 v13, v14, v22
	v_add_f32_e32 v14, v18, v16
	v_sub_f32_e32 v16, v23, v20
	ds_store_2addr_b64 v33, v[3:4], v[5:6] offset1:35
	ds_store_2addr_b64 v33, v[7:8], v[9:10] offset0:70 offset1:105
	ds_store_2addr_b64 v33, v[11:12], v[13:14] offset0:140 offset1:175
	ds_store_b64 v33, v[16:17] offset:1680
	global_wb scope:SCOPE_SE
	s_wait_dscnt 0x0
	s_barrier_signal -1
	s_barrier_wait -1
	global_inv scope:SCOPE_SE
	s_and_saveexec_b32 s6, s5
	s_cbranch_execz .LBB0_30
; %bb.29:
	v_mul_hi_u32 v3, 0x539782a, v15
	v_mul_hi_u32 v30, 0x10b7e6f, v0
	v_mul_lo_u32 v51, 0xffffffcf, v24
	s_delay_alu instid0(VALU_DEP_3) | instskip(NEXT) | instid1(VALU_DEP_1)
	v_mul_u32_u24_e32 v3, 49, v3
	v_sub_nc_u32_e32 v29, v15, v3
	s_delay_alu instid0(VALU_DEP_1) | instskip(SKIP_2) | instid1(VALU_DEP_3)
	v_mul_u32_u24_e32 v3, 6, v29
	v_add_nc_u32_e32 v31, 0x126, v29
	v_mul_lo_u32 v32, v29, v24
	v_lshlrev_b32_e32 v3, 3, v3
	s_delay_alu instid0(VALU_DEP_3)
	v_mul_lo_u32 v41, v31, v24
	s_clause 0x2
	global_load_b128 v[12:15], v3, s[0:1] offset:352
	global_load_b128 v[8:11], v3, s[0:1] offset:336
	;; [unrolled: 1-line block ×3, first 2 shown]
	ds_load_2addr_b64 v[16:19], v2 offset0:4 offset1:249
	ds_load_2addr_b64 v[20:23], v1 offset0:10 offset1:255
	ds_load_2addr_b64 v[0:3], v25 offset1:245
	ds_load_b64 v[27:28], v25 offset:11760
	v_add_nc_u32_e32 v25, s4, v26
	v_mad_u32_u24 v26, 0x157, v30, v29
	v_lshrrev_b32_e32 v42, 7, v32
	v_and_b32_e32 v43, 31, v32
	v_lshrrev_b32_e32 v44, 2, v32
	v_and_b32_e32 v45, 31, v41
	v_mad_co_u64_u32 v[29:30], null, s12, v26, v[25:26]
	v_dual_mov_b32 v30, 0 :: v_dual_add_nc_u32 v39, 0xf5, v26
	v_add_nc_u32_e32 v24, 49, v26
	v_add_nc_u32_e32 v33, 0x62, v26
	;; [unrolled: 1-line block ×5, first 2 shown]
	v_lshrrev_b32_e32 v46, 2, v41
	v_and_b32_e32 v42, 0xf8, v42
	v_lshl_add_u32 v77, v43, 3, 0
	v_and_b32_e32 v43, 0xf8, v44
	v_mad_co_u64_u32 v[33:34], null, s12, v33, v[25:26]
	v_mov_b32_e32 v34, v30
	v_mad_co_u64_u32 v[39:40], null, s12, v39, v[25:26]
	v_mov_b32_e32 v40, v30
	v_mad_co_u64_u32 v[37:38], null, s12, v37, v[25:26]
	v_mad_co_u64_u32 v[31:32], null, s12, v24, v[25:26]
	v_mov_b32_e32 v38, v30
	v_mad_co_u64_u32 v[35:36], null, s12, v35, v[25:26]
	v_mad_co_u64_u32 v[24:25], null, s12, v26, v[25:26]
	v_lshrrev_b32_e32 v26, 7, v41
	v_add_nc_u32_e32 v41, v41, v51
	v_and_b32_e32 v44, 0xf8, v46
	s_add_co_i32 s0, 0, 0x3598
	v_lshl_add_u32 v45, v45, 3, 0
	v_and_b32_e32 v26, 0xf8, v26
	v_lshrrev_b32_e32 v46, 7, v41
	v_and_b32_e32 v47, 31, v41
	v_lshrrev_b32_e32 v48, 2, v41
	v_add_nc_u32_e32 v41, v41, v51
	v_add_nc_u32_e32 v75, s0, v42
	;; [unrolled: 1-line block ×3, first 2 shown]
	v_and_b32_e32 v43, 0xf8, v46
	v_add_nc_u32_e32 v26, s0, v26
	v_lshrrev_b32_e32 v46, 7, v41
	v_add_nc_u32_e32 v50, v41, v51
	v_add_nc_u32_e32 v49, s0, v44
	v_lshl_add_u32 v52, v47, 3, 0
	v_and_b32_e32 v44, 0xf8, v48
	v_and_b32_e32 v47, 31, v41
	v_lshrrev_b32_e32 v48, 2, v41
	v_add_nc_u32_e32 v53, s0, v43
	v_and_b32_e32 v55, 0xf8, v46
	v_lshrrev_b32_e32 v58, 7, v50
	ds_load_b64 v[41:42], v42 offset:256
	v_add_nc_u32_e32 v54, s0, v44
	v_lshl_add_u32 v57, v47, 3, 0
	v_and_b32_e32 v56, 0xf8, v48
	v_and_b32_e32 v59, 31, v50
	v_lshrrev_b32_e32 v60, 2, v50
	v_add_nc_u32_e32 v61, v50, v51
	ds_load_b64 v[43:44], v26 offset:512
	ds_load_b64 v[45:46], v45 offset:13720
	;; [unrolled: 1-line block ×4, first 2 shown]
	v_add_nc_u32_e32 v26, s0, v55
	v_and_b32_e32 v63, 0xf8, v58
	v_lshl_add_u32 v64, v59, 3, 0
	v_and_b32_e32 v59, 0xf8, v60
	v_add_nc_u32_e32 v62, s0, v56
	v_lshrrev_b32_e32 v60, 7, v61
	v_and_b32_e32 v65, 31, v61
	v_lshrrev_b32_e32 v66, 2, v61
	v_add_nc_u32_e32 v61, v61, v51
	ds_load_b64 v[51:52], v52 offset:13720
	ds_load_b64 v[53:54], v54 offset:256
	;; [unrolled: 1-line block ×4, first 2 shown]
	v_add_nc_u32_e32 v26, s0, v63
	v_add_nc_u32_e32 v67, s0, v59
	v_and_b32_e32 v68, 0xf8, v60
	v_lshl_add_u32 v69, v65, 3, 0
	v_and_b32_e32 v70, 0xf8, v66
	v_lshrrev_b32_e32 v71, 7, v61
	v_and_b32_e32 v72, 31, v61
	v_lshrrev_b32_e32 v73, 2, v61
	ds_load_b64 v[59:60], v62 offset:256
	ds_load_b64 v[61:62], v26 offset:512
	ds_load_b64 v[63:64], v64 offset:13720
	ds_load_b64 v[65:66], v67 offset:256
	v_add_nc_u32_e32 v26, s0, v68
	v_and_b32_e32 v68, 0xf8, v71
	v_add_nc_u32_e32 v67, s0, v70
	s_wait_dscnt 0x9
	v_dual_mul_f32 v71, v46, v48 :: v_dual_and_b32 v70, 0xf8, v73
	v_mul_f32_e32 v79, v45, v48
	v_add_nc_u32_e32 v73, s0, v68
	v_lshl_add_u32 v72, v72, 3, 0
	s_delay_alu instid0(VALU_DEP_4)
	v_add_nc_u32_e32 v74, s0, v70
	v_fma_f32 v80, v45, v47, -v71
	v_fmac_f32_e32 v79, v46, v47
	s_wait_dscnt 0x6
	v_mul_f32_e32 v81, v52, v54
	v_mul_f32_e32 v54, v51, v54
	ds_load_b64 v[45:46], v26 offset:512
	ds_load_b64 v[47:48], v69 offset:13720
	;; [unrolled: 1-line block ×8, first 2 shown]
	v_mov_b32_e32 v32, v30
	v_mul_f32_e32 v26, v79, v44
	v_mul_f32_e32 v44, v80, v44
	v_fma_f32 v51, v51, v53, -v81
	v_fmac_f32_e32 v54, v52, v53
	s_wait_dscnt 0xb
	v_mul_f32_e32 v52, v58, v60
	v_mul_f32_e32 v53, v57, v60
	v_fma_f32 v26, v43, v80, -v26
	v_dual_fmac_f32 v44, v43, v79 :: v_dual_mul_f32 v43, v54, v50
	v_mul_f32_e32 v50, v51, v50
	v_fma_f32 v52, v57, v59, -v52
	v_fmac_f32_e32 v53, v58, v59
	s_wait_dscnt 0x8
	v_mul_f32_e32 v57, v64, v66
	v_mul_f32_e32 v58, v63, v66
	v_fma_f32 v43, v49, v51, -v43
	v_fmac_f32_e32 v50, v49, v54
	v_mul_f32_e32 v49, v53, v56
	v_mul_f32_e32 v51, v52, v56
	v_fma_f32 v54, v63, v65, -v57
	v_fmac_f32_e32 v58, v64, v65
	s_wait_dscnt 0x5
	v_mul_f32_e32 v56, v48, v68
	v_mul_f32_e32 v57, v47, v68
	v_fma_f32 v49, v55, v52, -v49
	v_dual_fmac_f32 v51, v55, v53 :: v_dual_mul_f32 v52, v58, v62
	s_delay_alu instid0(VALU_DEP_4) | instskip(NEXT) | instid1(VALU_DEP_4)
	v_fma_f32 v47, v47, v67, -v56
	v_fmac_f32_e32 v57, v48, v67
	s_wait_dscnt 0x2
	v_mul_f32_e32 v48, v72, v74
	v_mul_f32_e32 v55, v71, v74
	s_wait_dscnt 0x0
	v_mul_f32_e32 v56, v78, v42
	v_mul_f32_e32 v42, v77, v42
	;; [unrolled: 1-line block ×3, first 2 shown]
	v_fma_f32 v52, v61, v54, -v52
	v_dual_mul_f32 v54, v57, v46 :: v_dual_fmac_f32 v55, v72, v73
	v_fma_f32 v48, v71, v73, -v48
	v_fmac_f32_e32 v42, v41, v78
	v_fma_f32 v41, v77, v41, -v56
	v_fmac_f32_e32 v53, v61, v58
	v_mul_f32_e32 v46, v47, v46
	v_fma_f32 v47, v45, v47, -v54
	v_mul_f32_e32 v54, v55, v70
	v_mul_f32_e32 v56, v48, v70
	;; [unrolled: 1-line block ×4, first 2 shown]
	v_fmac_f32_e32 v46, v45, v57
	v_dual_mov_b32 v36, v30 :: v_dual_mov_b32 v25, v30
	v_lshlrev_b64_e32 v[29:30], 3, v[29:30]
	s_delay_alu instid0(VALU_DEP_4)
	v_fmac_f32_e32 v59, v75, v42
	v_lshlrev_b64_e32 v[31:32], 3, v[31:32]
	v_lshlrev_b64_e32 v[33:34], 3, v[33:34]
	;; [unrolled: 1-line block ×4, first 2 shown]
	v_add_co_u32 v29, vcc_lo, s2, v29
	s_wait_alu 0xfffd
	v_add_co_ci_u32_e32 v30, vcc_lo, s3, v30, vcc_lo
	v_add_co_u32 v31, vcc_lo, s2, v31
	s_wait_alu 0xfffd
	v_add_co_ci_u32_e32 v32, vcc_lo, s3, v32, vcc_lo
	v_add_co_u32 v33, vcc_lo, s2, v33
	s_wait_alu 0xfffd
	v_add_co_ci_u32_e32 v34, vcc_lo, s3, v34, vcc_lo
	v_lshlrev_b64_e32 v[39:40], 3, v[39:40]
	v_add_co_u32 v35, vcc_lo, s2, v35
	s_wait_alu 0xfffd
	v_add_co_ci_u32_e32 v36, vcc_lo, s3, v36, vcc_lo
	v_lshlrev_b64_e32 v[24:25], 3, v[24:25]
	v_add_co_u32 v37, vcc_lo, s2, v37
	s_wait_alu 0xfffd
	v_add_co_ci_u32_e32 v38, vcc_lo, s3, v38, vcc_lo
	v_add_co_u32 v39, vcc_lo, s2, v39
	s_wait_alu 0xfffd
	v_add_co_ci_u32_e32 v40, vcc_lo, s3, v40, vcc_lo
	;; [unrolled: 3-line block ×3, first 2 shown]
	s_wait_loadcnt 0x1
	v_dual_mul_f32 v42, v15, v17 :: v_dual_mul_f32 v57, v9, v3
	v_fma_f32 v45, v69, v48, -v54
	v_mul_f32_e32 v48, v13, v23
	v_dual_mul_f32 v54, v11, v21 :: v_dual_mul_f32 v13, v13, v22
	v_dual_mul_f32 v15, v15, v16 :: v_dual_fmac_f32 v56, v69, v55
	s_wait_loadcnt 0x0
	v_mul_f32_e32 v55, v5, v19
	v_mul_f32_e32 v11, v11, v20
	v_fma_f32 v41, v75, v41, -v58
	v_dual_mul_f32 v58, v7, v28 :: v_dual_mul_f32 v5, v5, v18
	v_dual_mul_f32 v9, v9, v2 :: v_dual_fmac_f32 v42, v14, v16
	v_dual_mul_f32 v7, v7, v27 :: v_dual_fmac_f32 v48, v12, v22
	v_dual_fmac_f32 v54, v10, v20 :: v_dual_fmac_f32 v55, v4, v18
	s_delay_alu instid0(VALU_DEP_4)
	v_dual_fmac_f32 v57, v8, v2 :: v_dual_fmac_f32 v58, v6, v27
	v_fma_f32 v2, v12, v23, -v13
	v_fma_f32 v12, v14, v17, -v15
	;; [unrolled: 1-line block ×6, first 2 shown]
	v_sub_f32_e32 v6, v42, v48
	v_dual_sub_f32 v7, v54, v55 :: v_dual_sub_f32 v8, v57, v58
	v_dual_add_f32 v9, v2, v12 :: v_dual_add_f32 v14, v48, v42
	v_dual_add_f32 v11, v10, v4 :: v_dual_add_f32 v16, v57, v58
	v_add_f32_e32 v13, v3, v5
	v_dual_add_f32 v15, v54, v55 :: v_dual_sub_f32 v2, v12, v2
	v_dual_sub_f32 v4, v10, v4 :: v_dual_sub_f32 v3, v3, v5
	v_add_f32_e32 v5, v6, v7
	s_delay_alu instid0(VALU_DEP_4) | instskip(NEXT) | instid1(VALU_DEP_4)
	v_dual_sub_f32 v10, v6, v7 :: v_dual_sub_f32 v17, v13, v9
	v_dual_sub_f32 v12, v9, v11 :: v_dual_add_f32 v21, v15, v16
	v_dual_add_f32 v18, v11, v13 :: v_dual_sub_f32 v19, v14, v15
	v_sub_f32_e32 v6, v8, v6
	v_dual_sub_f32 v20, v16, v14 :: v_dual_sub_f32 v23, v2, v4
	v_dual_add_f32 v22, v2, v4 :: v_dual_sub_f32 v11, v11, v13
	v_dual_sub_f32 v2, v3, v2 :: v_dual_add_f32 v5, v5, v8
	v_dual_sub_f32 v7, v7, v8 :: v_dual_sub_f32 v4, v4, v3
	v_dual_sub_f32 v13, v15, v16 :: v_dual_mul_f32 v8, 0x3f08b237, v10
	v_dual_mul_f32 v10, 0x3d64c772, v12 :: v_dual_add_f32 v9, v9, v18
	v_mul_f32_e32 v16, 0x3d64c772, v19
	v_add_f32_e32 v14, v14, v21
	v_mul_f32_e32 v18, 0x3f08b237, v23
	v_mul_f32_e32 v21, 0xbf5ff5aa, v4
	v_add_f32_e32 v1, v9, v1
	v_mul_f32_e32 v15, 0x3f4a47b2, v17
	v_mul_f32_e32 v17, 0x3f4a47b2, v20
	v_dual_add_f32 v23, v14, v0 :: v_dual_mul_f32 v20, 0xbf5ff5aa, v7
	s_delay_alu instid0(VALU_DEP_4) | instskip(NEXT) | instid1(VALU_DEP_4)
	v_mul_f32_e32 v0, v1, v59
	v_dual_add_f32 v3, v22, v3 :: v_dual_fmamk_f32 v12, v12, 0x3d64c772, v15
	v_fmamk_f32 v22, v6, 0xbeae86e6, v8
	v_fma_f32 v15, 0xbf3bfb3b, v11, -v15
	v_fma_f32 v10, 0x3f3bfb3b, v11, -v10
	;; [unrolled: 1-line block ×5, first 2 shown]
	v_dual_fmamk_f32 v11, v14, 0xbf955555, v23 :: v_dual_fmac_f32 v0, v23, v41
	v_fmamk_f32 v19, v19, 0x3d64c772, v17
	v_fma_f32 v17, 0xbf3bfb3b, v13, -v17
	v_fma_f32 v6, 0x3eae86e6, v6, -v20
	s_delay_alu instid0(VALU_DEP_4) | instskip(SKIP_1) | instid1(VALU_DEP_4)
	v_dual_fmamk_f32 v9, v9, 0xbf955555, v1 :: v_dual_add_f32 v8, v8, v11
	v_fmac_f32_e32 v4, 0xbee1c552, v3
	v_dual_add_f32 v14, v17, v11 :: v_dual_fmamk_f32 v27, v2, 0xbeae86e6, v18
	v_fma_f32 v2, 0x3eae86e6, v2, -v21
	v_fmac_f32_e32 v6, 0xbee1c552, v5
	v_fmac_f32_e32 v7, 0xbee1c552, v5
	s_delay_alu instid0(VALU_DEP_4) | instskip(NEXT) | instid1(VALU_DEP_4)
	v_fmac_f32_e32 v27, 0xbee1c552, v3
	v_fmac_f32_e32 v2, 0xbee1c552, v3
	v_dual_mul_f32 v3, v23, v59 :: v_dual_fmac_f32 v22, 0xbee1c552, v5
	v_dual_add_f32 v5, v12, v9 :: v_dual_add_f32 v12, v19, v11
	s_delay_alu instid0(VALU_DEP_3) | instskip(SKIP_1) | instid1(VALU_DEP_4)
	v_dual_add_f32 v13, v15, v9 :: v_dual_sub_f32 v16, v14, v2
	v_dual_add_f32 v9, v10, v9 :: v_dual_add_f32 v18, v4, v8
	v_fma_f32 v1, v1, v41, -v3
	s_delay_alu instid0(VALU_DEP_4)
	v_sub_f32_e32 v11, v12, v27
	v_add_f32_e32 v3, v22, v5
	v_dual_add_f32 v15, v6, v13 :: v_dual_add_f32 v12, v27, v12
	v_sub_f32_e32 v17, v9, v7
	v_dual_add_f32 v7, v7, v9 :: v_dual_mul_f32 v20, v18, v51
	v_sub_f32_e32 v9, v13, v6
	v_add_f32_e32 v13, v2, v14
	v_dual_sub_f32 v14, v5, v22 :: v_dual_sub_f32 v19, v8, v4
	v_mul_f32_e32 v2, v15, v50
	global_store_b64 v[29:30], v[0:1], off
	v_mul_f32_e32 v0, v3, v44
	v_mul_f32_e32 v23, v56, v12
	;; [unrolled: 1-line block ×3, first 2 shown]
	v_dual_mul_f32 v4, v17, v51 :: v_dual_mul_f32 v1, v11, v44
	v_mul_f32_e32 v22, v13, v46
	v_mul_f32_e32 v6, v7, v53
	v_dual_mul_f32 v21, v19, v53 :: v_dual_mul_f32 v8, v9, v46
	v_dual_mul_f32 v5, v16, v50 :: v_dual_fmac_f32 v10, v45, v12
	v_fmac_f32_e32 v0, v11, v26
	v_fma_f32 v11, v45, v14, -v23
	v_fma_f32 v9, v9, v47, -v22
	v_fmac_f32_e32 v8, v13, v47
	v_fma_f32 v7, v7, v52, -v21
	v_fmac_f32_e32 v6, v19, v52
	v_fma_f32 v1, v3, v26, -v1
	v_fma_f32 v3, v15, v43, -v5
	;; [unrolled: 1-line block ×3, first 2 shown]
	v_fmac_f32_e32 v4, v18, v49
	v_fmac_f32_e32 v2, v16, v43
	s_clause 0x5
	global_store_b64 v[31:32], v[10:11], off
	global_store_b64 v[33:34], v[8:9], off
	;; [unrolled: 1-line block ×6, first 2 shown]
.LBB0_30:
	s_nop 0
	s_sendmsg sendmsg(MSG_DEALLOC_VGPRS)
	s_endpgm
	.section	.rodata,"a",@progbits
	.p2align	6, 0x0
	.amdhsa_kernel fft_rtc_back_len343_factors_7_7_7_wgs_245_tpt_49_sp_ip_CI_sbcc_twdbase5_3step_dirReg_intrinsicReadWrite
		.amdhsa_group_segment_fixed_size 0
		.amdhsa_private_segment_fixed_size 0
		.amdhsa_kernarg_size 96
		.amdhsa_user_sgpr_count 2
		.amdhsa_user_sgpr_dispatch_ptr 0
		.amdhsa_user_sgpr_queue_ptr 0
		.amdhsa_user_sgpr_kernarg_segment_ptr 1
		.amdhsa_user_sgpr_dispatch_id 0
		.amdhsa_user_sgpr_private_segment_size 0
		.amdhsa_wavefront_size32 1
		.amdhsa_uses_dynamic_stack 0
		.amdhsa_enable_private_segment 0
		.amdhsa_system_sgpr_workgroup_id_x 1
		.amdhsa_system_sgpr_workgroup_id_y 0
		.amdhsa_system_sgpr_workgroup_id_z 0
		.amdhsa_system_sgpr_workgroup_info 0
		.amdhsa_system_vgpr_workitem_id 0
		.amdhsa_next_free_vgpr 82
		.amdhsa_next_free_sgpr 48
		.amdhsa_reserve_vcc 1
		.amdhsa_float_round_mode_32 0
		.amdhsa_float_round_mode_16_64 0
		.amdhsa_float_denorm_mode_32 3
		.amdhsa_float_denorm_mode_16_64 3
		.amdhsa_fp16_overflow 0
		.amdhsa_workgroup_processor_mode 1
		.amdhsa_memory_ordered 1
		.amdhsa_forward_progress 0
		.amdhsa_round_robin_scheduling 0
		.amdhsa_exception_fp_ieee_invalid_op 0
		.amdhsa_exception_fp_denorm_src 0
		.amdhsa_exception_fp_ieee_div_zero 0
		.amdhsa_exception_fp_ieee_overflow 0
		.amdhsa_exception_fp_ieee_underflow 0
		.amdhsa_exception_fp_ieee_inexact 0
		.amdhsa_exception_int_div_zero 0
	.end_amdhsa_kernel
	.text
.Lfunc_end0:
	.size	fft_rtc_back_len343_factors_7_7_7_wgs_245_tpt_49_sp_ip_CI_sbcc_twdbase5_3step_dirReg_intrinsicReadWrite, .Lfunc_end0-fft_rtc_back_len343_factors_7_7_7_wgs_245_tpt_49_sp_ip_CI_sbcc_twdbase5_3step_dirReg_intrinsicReadWrite
                                        ; -- End function
	.section	.AMDGPU.csdata,"",@progbits
; Kernel info:
; codeLenInByte = 5992
; NumSgprs: 50
; NumVgprs: 82
; ScratchSize: 0
; MemoryBound: 0
; FloatMode: 240
; IeeeMode: 1
; LDSByteSize: 0 bytes/workgroup (compile time only)
; SGPRBlocks: 6
; VGPRBlocks: 10
; NumSGPRsForWavesPerEU: 50
; NumVGPRsForWavesPerEU: 82
; Occupancy: 16
; WaveLimiterHint : 1
; COMPUTE_PGM_RSRC2:SCRATCH_EN: 0
; COMPUTE_PGM_RSRC2:USER_SGPR: 2
; COMPUTE_PGM_RSRC2:TRAP_HANDLER: 0
; COMPUTE_PGM_RSRC2:TGID_X_EN: 1
; COMPUTE_PGM_RSRC2:TGID_Y_EN: 0
; COMPUTE_PGM_RSRC2:TGID_Z_EN: 0
; COMPUTE_PGM_RSRC2:TIDIG_COMP_CNT: 0
	.text
	.p2alignl 7, 3214868480
	.fill 96, 4, 3214868480
	.type	__hip_cuid_5e0d3dee2c513f8f,@object ; @__hip_cuid_5e0d3dee2c513f8f
	.section	.bss,"aw",@nobits
	.globl	__hip_cuid_5e0d3dee2c513f8f
__hip_cuid_5e0d3dee2c513f8f:
	.byte	0                               ; 0x0
	.size	__hip_cuid_5e0d3dee2c513f8f, 1

	.ident	"AMD clang version 19.0.0git (https://github.com/RadeonOpenCompute/llvm-project roc-6.4.0 25133 c7fe45cf4b819c5991fe208aaa96edf142730f1d)"
	.section	".note.GNU-stack","",@progbits
	.addrsig
	.addrsig_sym __hip_cuid_5e0d3dee2c513f8f
	.amdgpu_metadata
---
amdhsa.kernels:
  - .args:
      - .actual_access:  read_only
        .address_space:  global
        .offset:         0
        .size:           8
        .value_kind:     global_buffer
      - .address_space:  global
        .offset:         8
        .size:           8
        .value_kind:     global_buffer
      - .offset:         16
        .size:           8
        .value_kind:     by_value
      - .actual_access:  read_only
        .address_space:  global
        .offset:         24
        .size:           8
        .value_kind:     global_buffer
      - .actual_access:  read_only
        .address_space:  global
        .offset:         32
        .size:           8
        .value_kind:     global_buffer
      - .offset:         40
        .size:           8
        .value_kind:     by_value
      - .actual_access:  read_only
        .address_space:  global
        .offset:         48
        .size:           8
        .value_kind:     global_buffer
      - .actual_access:  read_only
        .address_space:  global
        .offset:         56
        .size:           8
        .value_kind:     global_buffer
      - .offset:         64
        .size:           4
        .value_kind:     by_value
      - .actual_access:  read_only
        .address_space:  global
        .offset:         72
        .size:           8
        .value_kind:     global_buffer
      - .actual_access:  read_only
        .address_space:  global
        .offset:         80
        .size:           8
        .value_kind:     global_buffer
      - .address_space:  global
        .offset:         88
        .size:           8
        .value_kind:     global_buffer
    .group_segment_fixed_size: 0
    .kernarg_segment_align: 8
    .kernarg_segment_size: 96
    .language:       OpenCL C
    .language_version:
      - 2
      - 0
    .max_flat_workgroup_size: 245
    .name:           fft_rtc_back_len343_factors_7_7_7_wgs_245_tpt_49_sp_ip_CI_sbcc_twdbase5_3step_dirReg_intrinsicReadWrite
    .private_segment_fixed_size: 0
    .sgpr_count:     50
    .sgpr_spill_count: 0
    .symbol:         fft_rtc_back_len343_factors_7_7_7_wgs_245_tpt_49_sp_ip_CI_sbcc_twdbase5_3step_dirReg_intrinsicReadWrite.kd
    .uniform_work_group_size: 1
    .uses_dynamic_stack: false
    .vgpr_count:     82
    .vgpr_spill_count: 0
    .wavefront_size: 32
    .workgroup_processor_mode: 1
amdhsa.target:   amdgcn-amd-amdhsa--gfx1201
amdhsa.version:
  - 1
  - 2
...

	.end_amdgpu_metadata
